;; amdgpu-corpus repo=ROCm/HIPIFY kind=compiled arch=gfx906 opt=O3
	.amdgcn_target "amdgcn-amd-amdhsa--gfx906"
	.amdhsa_code_object_version 6
	.text
	.protected	_Z9repulsion4data       ; -- Begin function _Z9repulsion4data
	.globl	_Z9repulsion4data
	.p2align	8
	.type	_Z9repulsion4data,@function
_Z9repulsion4data:                      ; @_Z9repulsion4data
; %bb.0:
	s_load_dword s0, s[4:5], 0x20
	s_load_dword s1, s[4:5], 0x2c
	s_waitcnt lgkmcnt(0)
	s_mul_i32 s0, s0, s7
	s_add_i32 s0, s0, s6
	s_and_b32 s1, s1, 0xffff
	s_mul_i32 s0, s0, s1
	v_add_u32_e32 v0, s0, v0
	v_cmp_gt_i32_e32 vcc, 20, v0
	s_and_saveexec_b64 s[0:1], vcc
	s_cbranch_execz .LBB0_2
; %bb.1:
	s_load_dwordx2 s[0:1], s[4:5], 0x8
	v_ashrrev_i32_e32 v1, 31, v0
	v_lshlrev_b64 v[0:1], 4, v[0:1]
	s_waitcnt lgkmcnt(0)
	v_mov_b32_e32 v2, s1
	v_add_co_u32_e32 v3, vcc, s0, v0
	v_mov_b32_e32 v0, 1.0
	v_addc_co_u32_e32 v4, vcc, v2, v1, vcc
	v_mov_b32_e32 v1, v0
	v_mov_b32_e32 v2, v0
	global_store_dwordx3 v[3:4], v[0:2], off
.LBB0_2:
	s_endpgm
	.section	.rodata,"a",@progbits
	.p2align	6, 0x0
	.amdhsa_kernel _Z9repulsion4data
		.amdhsa_group_segment_fixed_size 0
		.amdhsa_private_segment_fixed_size 0
		.amdhsa_kernarg_size 288
		.amdhsa_user_sgpr_count 6
		.amdhsa_user_sgpr_private_segment_buffer 1
		.amdhsa_user_sgpr_dispatch_ptr 0
		.amdhsa_user_sgpr_queue_ptr 0
		.amdhsa_user_sgpr_kernarg_segment_ptr 1
		.amdhsa_user_sgpr_dispatch_id 0
		.amdhsa_user_sgpr_flat_scratch_init 0
		.amdhsa_user_sgpr_private_segment_size 0
		.amdhsa_uses_dynamic_stack 0
		.amdhsa_system_sgpr_private_segment_wavefront_offset 0
		.amdhsa_system_sgpr_workgroup_id_x 1
		.amdhsa_system_sgpr_workgroup_id_y 1
		.amdhsa_system_sgpr_workgroup_id_z 0
		.amdhsa_system_sgpr_workgroup_info 0
		.amdhsa_system_vgpr_workitem_id 0
		.amdhsa_next_free_vgpr 5
		.amdhsa_next_free_sgpr 8
		.amdhsa_reserve_vcc 1
		.amdhsa_reserve_flat_scratch 0
		.amdhsa_float_round_mode_32 0
		.amdhsa_float_round_mode_16_64 0
		.amdhsa_float_denorm_mode_32 3
		.amdhsa_float_denorm_mode_16_64 3
		.amdhsa_dx10_clamp 1
		.amdhsa_ieee_mode 1
		.amdhsa_fp16_overflow 0
		.amdhsa_exception_fp_ieee_invalid_op 0
		.amdhsa_exception_fp_denorm_src 0
		.amdhsa_exception_fp_ieee_div_zero 0
		.amdhsa_exception_fp_ieee_overflow 0
		.amdhsa_exception_fp_ieee_underflow 0
		.amdhsa_exception_fp_ieee_inexact 0
		.amdhsa_exception_int_div_zero 0
	.end_amdhsa_kernel
	.text
.Lfunc_end0:
	.size	_Z9repulsion4data, .Lfunc_end0-_Z9repulsion4data
                                        ; -- End function
	.set _Z9repulsion4data.num_vgpr, 5
	.set _Z9repulsion4data.num_agpr, 0
	.set _Z9repulsion4data.numbered_sgpr, 8
	.set _Z9repulsion4data.num_named_barrier, 0
	.set _Z9repulsion4data.private_seg_size, 0
	.set _Z9repulsion4data.uses_vcc, 1
	.set _Z9repulsion4data.uses_flat_scratch, 0
	.set _Z9repulsion4data.has_dyn_sized_stack, 0
	.set _Z9repulsion4data.has_recursion, 0
	.set _Z9repulsion4data.has_indirect_call, 0
	.section	.AMDGPU.csdata,"",@progbits
; Kernel info:
; codeLenInByte = 116
; TotalNumSgprs: 12
; NumVgprs: 5
; ScratchSize: 0
; MemoryBound: 0
; FloatMode: 240
; IeeeMode: 1
; LDSByteSize: 0 bytes/workgroup (compile time only)
; SGPRBlocks: 1
; VGPRBlocks: 1
; NumSGPRsForWavesPerEU: 12
; NumVGPRsForWavesPerEU: 5
; Occupancy: 10
; WaveLimiterHint : 0
; COMPUTE_PGM_RSRC2:SCRATCH_EN: 0
; COMPUTE_PGM_RSRC2:USER_SGPR: 6
; COMPUTE_PGM_RSRC2:TRAP_HANDLER: 0
; COMPUTE_PGM_RSRC2:TGID_X_EN: 1
; COMPUTE_PGM_RSRC2:TGID_Y_EN: 1
; COMPUTE_PGM_RSRC2:TGID_Z_EN: 0
; COMPUTE_PGM_RSRC2:TIDIG_COMP_CNT: 0
	.text
	.protected	_Z11integration4data    ; -- Begin function _Z11integration4data
	.globl	_Z11integration4data
	.p2align	8
	.type	_Z11integration4data,@function
_Z11integration4data:                   ; @_Z11integration4data
; %bb.0:
	s_load_dword s0, s[4:5], 0x20
	s_load_dword s1, s[4:5], 0x2c
	s_waitcnt lgkmcnt(0)
	s_mul_i32 s0, s0, s7
	s_add_i32 s0, s0, s6
	s_and_b32 s1, s1, 0xffff
	s_mul_i32 s0, s0, s1
	v_add_u32_e32 v0, s0, v0
	v_cmp_gt_i32_e32 vcc, 20, v0
	s_and_saveexec_b64 s[0:1], vcc
	s_cbranch_execz .LBB1_2
; %bb.1:
	s_load_dwordx2 s[0:1], s[4:5], 0x18
	v_ashrrev_i32_e32 v1, 31, v0
	v_lshlrev_b64 v[8:9], 4, v[0:1]
	s_waitcnt lgkmcnt(0)
	v_mov_b32_e32 v0, s1
	v_add_co_u32_e32 v12, vcc, s0, v8
	v_addc_co_u32_e32 v13, vcc, v0, v9, vcc
	global_load_dwordx4 v[0:3], v[12:13], off
	s_load_dwordx4 s[0:3], s[4:5], 0x8
	s_mov_b32 s4, 0x47ae147b
	s_mov_b32 s5, 0x3f847ae1
	s_waitcnt lgkmcnt(0)
	v_mov_b32_e32 v16, s3
	s_waitcnt vmcnt(0)
	v_cvt_f64_f32_e32 v[4:5], v0
	v_cvt_f64_f32_e32 v[0:1], v1
	v_cvt_f64_f32_e32 v[6:7], v2
	v_cvt_f64_f32_e32 v[2:3], v3
	v_mul_f64 v[4:5], v[4:5], s[4:5]
	v_mul_f64 v[10:11], v[0:1], s[4:5]
	;; [unrolled: 1-line block ×4, first 2 shown]
	v_cvt_f32_f64_e32 v0, v[4:5]
	v_cvt_f32_f64_e32 v1, v[10:11]
	;; [unrolled: 1-line block ×4, first 2 shown]
	v_add_co_u32_e32 v10, vcc, s2, v8
	v_addc_co_u32_e32 v11, vcc, v16, v9, vcc
	global_store_dwordx4 v[12:13], v[0:3], off
	global_load_dwordx4 v[0:3], v[10:11], off
	s_waitcnt vmcnt(0)
	v_cvt_f64_f32_e32 v[4:5], v0
	v_cvt_f64_f32_e32 v[0:1], v1
	;; [unrolled: 1-line block ×4, first 2 shown]
	v_mul_f64 v[4:5], v[4:5], s[4:5]
	v_mul_f64 v[14:15], v[0:1], s[4:5]
	;; [unrolled: 1-line block ×4, first 2 shown]
	v_cvt_f32_f64_e32 v0, v[4:5]
	v_cvt_f32_f64_e32 v1, v[14:15]
	v_cvt_f32_f64_e32 v2, v[6:7]
	v_cvt_f32_f64_e32 v3, v[16:17]
	v_mov_b32_e32 v15, s1
	v_add_co_u32_e32 v14, vcc, s0, v8
	global_store_dwordx4 v[10:11], v[0:3], off
	global_load_dwordx4 v[4:7], v[12:13], off
	v_addc_co_u32_e32 v15, vcc, v15, v9, vcc
	v_mov_b32_e32 v8, 0
	v_mov_b32_e32 v9, v8
	s_waitcnt vmcnt(0)
	v_add_f32_e32 v0, v4, v0
	v_add_f32_e32 v1, v5, v1
	;; [unrolled: 1-line block ×4, first 2 shown]
	global_store_dwordx4 v[10:11], v[0:3], off
	global_load_dwordx4 v[4:7], v[14:15], off
	v_mov_b32_e32 v10, v8
	v_mov_b32_e32 v11, v8
	s_waitcnt vmcnt(0)
	v_add_f32_e32 v0, v0, v4
	v_add_f32_e32 v1, v1, v5
	;; [unrolled: 1-line block ×4, first 2 shown]
	global_store_dwordx4 v[14:15], v[0:3], off
	global_store_dwordx4 v[12:13], v[8:11], off
.LBB1_2:
	s_endpgm
	.section	.rodata,"a",@progbits
	.p2align	6, 0x0
	.amdhsa_kernel _Z11integration4data
		.amdhsa_group_segment_fixed_size 0
		.amdhsa_private_segment_fixed_size 0
		.amdhsa_kernarg_size 288
		.amdhsa_user_sgpr_count 6
		.amdhsa_user_sgpr_private_segment_buffer 1
		.amdhsa_user_sgpr_dispatch_ptr 0
		.amdhsa_user_sgpr_queue_ptr 0
		.amdhsa_user_sgpr_kernarg_segment_ptr 1
		.amdhsa_user_sgpr_dispatch_id 0
		.amdhsa_user_sgpr_flat_scratch_init 0
		.amdhsa_user_sgpr_private_segment_size 0
		.amdhsa_uses_dynamic_stack 0
		.amdhsa_system_sgpr_private_segment_wavefront_offset 0
		.amdhsa_system_sgpr_workgroup_id_x 1
		.amdhsa_system_sgpr_workgroup_id_y 1
		.amdhsa_system_sgpr_workgroup_id_z 0
		.amdhsa_system_sgpr_workgroup_info 0
		.amdhsa_system_vgpr_workitem_id 0
		.amdhsa_next_free_vgpr 18
		.amdhsa_next_free_sgpr 8
		.amdhsa_reserve_vcc 1
		.amdhsa_reserve_flat_scratch 0
		.amdhsa_float_round_mode_32 0
		.amdhsa_float_round_mode_16_64 0
		.amdhsa_float_denorm_mode_32 3
		.amdhsa_float_denorm_mode_16_64 3
		.amdhsa_dx10_clamp 1
		.amdhsa_ieee_mode 1
		.amdhsa_fp16_overflow 0
		.amdhsa_exception_fp_ieee_invalid_op 0
		.amdhsa_exception_fp_denorm_src 0
		.amdhsa_exception_fp_ieee_div_zero 0
		.amdhsa_exception_fp_ieee_overflow 0
		.amdhsa_exception_fp_ieee_underflow 0
		.amdhsa_exception_fp_ieee_inexact 0
		.amdhsa_exception_int_div_zero 0
	.end_amdhsa_kernel
	.text
.Lfunc_end1:
	.size	_Z11integration4data, .Lfunc_end1-_Z11integration4data
                                        ; -- End function
	.set _Z11integration4data.num_vgpr, 18
	.set _Z11integration4data.num_agpr, 0
	.set _Z11integration4data.numbered_sgpr, 8
	.set _Z11integration4data.num_named_barrier, 0
	.set _Z11integration4data.private_seg_size, 0
	.set _Z11integration4data.uses_vcc, 1
	.set _Z11integration4data.uses_flat_scratch, 0
	.set _Z11integration4data.has_dyn_sized_stack, 0
	.set _Z11integration4data.has_recursion, 0
	.set _Z11integration4data.has_indirect_call, 0
	.section	.AMDGPU.csdata,"",@progbits
; Kernel info:
; codeLenInByte = 412
; TotalNumSgprs: 12
; NumVgprs: 18
; ScratchSize: 0
; MemoryBound: 0
; FloatMode: 240
; IeeeMode: 1
; LDSByteSize: 0 bytes/workgroup (compile time only)
; SGPRBlocks: 1
; VGPRBlocks: 4
; NumSGPRsForWavesPerEU: 12
; NumVGPRsForWavesPerEU: 18
; Occupancy: 10
; WaveLimiterHint : 0
; COMPUTE_PGM_RSRC2:SCRATCH_EN: 0
; COMPUTE_PGM_RSRC2:USER_SGPR: 6
; COMPUTE_PGM_RSRC2:TRAP_HANDLER: 0
; COMPUTE_PGM_RSRC2:TGID_X_EN: 1
; COMPUTE_PGM_RSRC2:TGID_Y_EN: 1
; COMPUTE_PGM_RSRC2:TGID_Z_EN: 0
; COMPUTE_PGM_RSRC2:TIDIG_COMP_CNT: 0
	.section	.AMDGPU.gpr_maximums,"",@progbits
	.set amdgpu.max_num_vgpr, 0
	.set amdgpu.max_num_agpr, 0
	.set amdgpu.max_num_sgpr, 0
	.section	.AMDGPU.csdata,"",@progbits
	.type	__hip_cuid_1a655bb6f45559b,@object ; @__hip_cuid_1a655bb6f45559b
	.section	.bss,"aw",@nobits
	.globl	__hip_cuid_1a655bb6f45559b
__hip_cuid_1a655bb6f45559b:
	.byte	0                               ; 0x0
	.size	__hip_cuid_1a655bb6f45559b, 1

	.ident	"AMD clang version 22.0.0git (https://github.com/RadeonOpenCompute/llvm-project roc-7.2.4 26084 f58b06dce1f9c15707c5f808fd002e18c2accf7e)"
	.section	".note.GNU-stack","",@progbits
	.addrsig
	.addrsig_sym __hip_cuid_1a655bb6f45559b
	.amdgpu_metadata
---
amdhsa.kernels:
  - .args:
      - .offset:         0
        .size:           32
        .value_kind:     by_value
      - .offset:         32
        .size:           4
        .value_kind:     hidden_block_count_x
      - .offset:         36
        .size:           4
        .value_kind:     hidden_block_count_y
      - .offset:         40
        .size:           4
        .value_kind:     hidden_block_count_z
      - .offset:         44
        .size:           2
        .value_kind:     hidden_group_size_x
      - .offset:         46
        .size:           2
        .value_kind:     hidden_group_size_y
      - .offset:         48
        .size:           2
        .value_kind:     hidden_group_size_z
      - .offset:         50
        .size:           2
        .value_kind:     hidden_remainder_x
      - .offset:         52
        .size:           2
        .value_kind:     hidden_remainder_y
      - .offset:         54
        .size:           2
        .value_kind:     hidden_remainder_z
      - .offset:         72
        .size:           8
        .value_kind:     hidden_global_offset_x
      - .offset:         80
        .size:           8
        .value_kind:     hidden_global_offset_y
      - .offset:         88
        .size:           8
        .value_kind:     hidden_global_offset_z
      - .offset:         96
        .size:           2
        .value_kind:     hidden_grid_dims
    .group_segment_fixed_size: 0
    .kernarg_segment_align: 8
    .kernarg_segment_size: 288
    .language:       OpenCL C
    .language_version:
      - 2
      - 0
    .max_flat_workgroup_size: 1024
    .name:           _Z9repulsion4data
    .private_segment_fixed_size: 0
    .sgpr_count:     12
    .sgpr_spill_count: 0
    .symbol:         _Z9repulsion4data.kd
    .uniform_work_group_size: 1
    .uses_dynamic_stack: false
    .vgpr_count:     5
    .vgpr_spill_count: 0
    .wavefront_size: 64
  - .args:
      - .offset:         0
        .size:           32
        .value_kind:     by_value
      - .offset:         32
        .size:           4
        .value_kind:     hidden_block_count_x
      - .offset:         36
        .size:           4
        .value_kind:     hidden_block_count_y
      - .offset:         40
        .size:           4
        .value_kind:     hidden_block_count_z
      - .offset:         44
        .size:           2
        .value_kind:     hidden_group_size_x
      - .offset:         46
        .size:           2
        .value_kind:     hidden_group_size_y
      - .offset:         48
        .size:           2
        .value_kind:     hidden_group_size_z
      - .offset:         50
        .size:           2
        .value_kind:     hidden_remainder_x
      - .offset:         52
        .size:           2
        .value_kind:     hidden_remainder_y
      - .offset:         54
        .size:           2
        .value_kind:     hidden_remainder_z
      - .offset:         72
        .size:           8
        .value_kind:     hidden_global_offset_x
      - .offset:         80
        .size:           8
        .value_kind:     hidden_global_offset_y
      - .offset:         88
        .size:           8
        .value_kind:     hidden_global_offset_z
      - .offset:         96
        .size:           2
        .value_kind:     hidden_grid_dims
    .group_segment_fixed_size: 0
    .kernarg_segment_align: 8
    .kernarg_segment_size: 288
    .language:       OpenCL C
    .language_version:
      - 2
      - 0
    .max_flat_workgroup_size: 1024
    .name:           _Z11integration4data
    .private_segment_fixed_size: 0
    .sgpr_count:     12
    .sgpr_spill_count: 0
    .symbol:         _Z11integration4data.kd
    .uniform_work_group_size: 1
    .uses_dynamic_stack: false
    .vgpr_count:     18
    .vgpr_spill_count: 0
    .wavefront_size: 64
amdhsa.target:   amdgcn-amd-amdhsa--gfx906
amdhsa.version:
  - 1
  - 2
...

	.end_amdgpu_metadata
